;; amdgpu-corpus repo=FlagOpen/FlagGems kind=triton arch=gfx950 opt=O3 lang=triton
	.amdgcn_target "amdgcn-amd-amdhsa--gfx950"
	.amdhsa_code_object_version 5
	.text
	.globl	histc_kernel_simple             ; -- Begin function histc_kernel_simple
	.p2align	8
	.type	histc_kernel_simple,@function
histc_kernel_simple:                    ; @histc_kernel_simple
.Lfunc_begin0:
	.cfi_sections .debug_frame
	.cfi_startproc
; %bb.45:
	.file	1 "/root/src/amdgpu-assembly/repos/FlagOpen__FlagGems/triton_aot_kernels" "histc_aot.py"
	.loc	1 8 0 prologue_end              ; histc_aot.py:8:0
	s_load_dwordx2 s[2:3], s[0:1], 0x0
	s_load_dwordx8 s[4:11], s[0:1], 0x8
	s_load_dwordx2 s[12:13], s[0:1], 0x28
	s_waitcnt lgkmcnt(0)
	s_branch .LBB0_0
	.loc	1 0 0 is_stmt 0                 ; :0:0
.Ltmp0:
	.p2align	8
; %bb.46:
.LBB0_0:
.Ltmp1:
	.loc	1 21 45 is_stmt 1               ; histc_aot.py:21:45
	v_readfirstlane_b32 s0, v0
	.loc	1 46 37                         ; histc_aot.py:46:37
	s_and_b32 s0, s0, 0xc0
	.loc	1 21 19                         ; histc_aot.py:21:19
	s_lshl_b32 s1, s14, 10
	.loc	1 21 45 is_stmt 0               ; histc_aot.py:21:45
	v_and_b32_e32 v6, 63, v0
	.loc	1 21 32                         ; histc_aot.py:21:32
	s_or_b32 s0, s0, s1
	v_or_b32_e32 v4, s0, v6
	.loc	1 25 32 is_stmt 1               ; histc_aot.py:25:32
	v_ashrrev_i32_e32 v5, 31, v4
	.loc	1 25 22 is_stmt 0               ; histc_aot.py:25:22
	v_mov_b32_e32 v10, 0x7fc00000
	s_mov_b32 s16, s7
	.loc	1 22 20 is_stmt 1               ; histc_aot.py:22:20
	v_cmp_gt_i32_e64 s[10:11], s6, v4
	.loc	1 25 32                         ; histc_aot.py:25:32
	v_lshl_add_u64 v[0:1], v[4:5], 2, s[2:3]
	v_mov_b32_e32 v2, v10
	.loc	1 25 22 is_stmt 0               ; histc_aot.py:25:22
	s_and_saveexec_b64 s[0:1], s[10:11]
	s_cbranch_execz .LBB0_2
; %bb.1:
	global_load_dword v2, v[0:1], off
.LBB0_2:
	.loc	1 0 22                          ; histc_aot.py:0:22
	s_or_b64 exec, exec, s[0:1]
	.loc	1 21 32 is_stmt 1               ; histc_aot.py:21:32
	v_or_b32_e32 v3, 0x100, v4
	.loc	1 22 20                         ; histc_aot.py:22:20
	v_cmp_gt_i32_e64 s[12:13], s6, v3
	.loc	1 25 22                         ; histc_aot.py:25:22
	s_and_saveexec_b64 s[0:1], s[12:13]
	s_cbranch_execz .LBB0_4
; %bb.3:
	global_load_dword v10, v[0:1], off offset:1024
.LBB0_4:
	.loc	1 0 22 is_stmt 0                ; histc_aot.py:0:22
	s_or_b64 exec, exec, s[0:1]
	.loc	1 21 32 is_stmt 1               ; histc_aot.py:21:32
	v_or_b32_e32 v3, 0x200, v4
	.loc	1 25 22                         ; histc_aot.py:25:22
	v_mov_b32_e32 v7, 0x7fc00000
	.loc	1 22 20                         ; histc_aot.py:22:20
	v_cmp_gt_i32_e64 s[2:3], s6, v3
	v_mov_b32_e32 v9, v7
	.loc	1 25 22                         ; histc_aot.py:25:22
	s_and_saveexec_b64 s[0:1], s[2:3]
	s_cbranch_execz .LBB0_6
; %bb.5:
	global_load_dword v9, v[0:1], off offset:2048
.LBB0_6:
	.loc	1 0 22 is_stmt 0                ; histc_aot.py:0:22
	s_or_b64 exec, exec, s[0:1]
	.loc	1 21 32 is_stmt 1               ; histc_aot.py:21:32
	v_or_b32_e32 v3, 0x300, v4
	.loc	1 22 20                         ; histc_aot.py:22:20
	v_cmp_gt_i32_e64 s[0:1], s6, v3
	.loc	1 25 22                         ; histc_aot.py:25:22
	s_and_saveexec_b64 s[6:7], s[0:1]
	s_cbranch_execz .LBB0_8
; %bb.7:
	global_load_dword v7, v[0:1], off offset:3072
.LBB0_8:
	.loc	1 0 22 is_stmt 0                ; histc_aot.py:0:22
	s_or_b64 exec, exec, s[6:7]
	.loc	1 31 45 is_stmt 1               ; histc_aot.py:31:45
	v_cvt_f32_i32_e32 v8, s16
	.loc	1 31 34 is_stmt 0               ; histc_aot.py:31:34
	v_mov_b32_e32 v3, s9
	s_waitcnt vmcnt(0)
	v_pk_add_f32 v[0:1], v[2:3], s[8:9] op_sel_hi:[1,0] neg_lo:[0,1] neg_hi:[0,1]
	s_mov_b32 s18, 0x2f800000
	.loc	1 31 45                         ; histc_aot.py:31:45
	v_mul_f32_e32 v0, v0, v8
	.loc	1 31 53                         ; histc_aot.py:31:53
	v_div_scale_f32 v3, s[6:7], v1, v1, v0
	v_rcp_f32_e32 v4, v3
	v_div_scale_f32 v5, vcc, v0, v1, v0
	s_mov_b32 s19, 0xcf800000
	v_fma_f32 v11, -v3, v4, 1.0
	v_fmac_f32_e32 v4, v11, v4
	v_mul_f32_e32 v11, v5, v4
	v_fma_f32 v12, -v3, v11, v5
	v_fmac_f32_e32 v11, v12, v4
	v_fma_f32 v3, -v3, v11, v5
	v_div_fmas_f32 v3, v3, v4, v11
	v_div_fixup_f32 v0, v3, v1, v0
	.loc	1 31 23                         ; histc_aot.py:31:23
	v_floor_f32_e32 v0, v0
	.loc	1 31 76                         ; histc_aot.py:31:76
	v_mul_f32_e64 v3, |v0|, s18
	v_floor_f32_e32 v3, v3
	v_fma_f32 v4, v3, s19, |v0|
	v_cvt_u32_f32_e32 v4, v4
	v_cvt_u32_f32_e32 v3, v3
	v_ashrrev_i32_e32 v5, 31, v0
	.loc	1 34 50 is_stmt 1               ; histc_aot.py:34:50
	s_add_i32 s14, s16, -1
	.loc	1 31 76                         ; histc_aot.py:31:76
	v_xor_b32_e32 v0, v4, v5
	v_xor_b32_e32 v3, v3, v5
	v_sub_co_u32_e32 v0, vcc, v0, v5
	.loc	1 34 53                         ; histc_aot.py:34:53
	s_ashr_i32 s15, s14, 31
	.loc	1 31 76                         ; histc_aot.py:31:76
	s_nop 0
	v_subb_co_u32_e32 v3, vcc, v3, v5, vcc
	.loc	1 34 53                         ; histc_aot.py:34:53
	v_mov_b32_e32 v11, s15
	.loc	1 34 34 is_stmt 0               ; histc_aot.py:34:34
	v_cmp_eq_f32_e32 vcc, s9, v2
	.loc	1 34 53                         ; histc_aot.py:34:53
	v_mov_b32_e32 v12, s14
	.loc	1 37 50 is_stmt 1               ; histc_aot.py:37:50
	v_cmp_ge_f32_e64 s[6:7], s9, v2
	.loc	1 34 53                         ; histc_aot.py:34:53
	v_cndmask_b32_e32 v5, v3, v11, vcc
	v_cndmask_b32_e32 v4, v0, v12, vcc
	.loc	1 37 27                         ; histc_aot.py:37:27
	v_cmp_le_f32_e32 vcc, s8, v2
	.loc	1 37 39 is_stmt 0               ; histc_aot.py:37:39
	s_and_b64 s[6:7], vcc, s[6:7]
	.loc	1 40 39 is_stmt 1               ; histc_aot.py:40:39
	v_cmp_lt_i64_e32 vcc, 0, v[4:5]
	.loc	1 41 34                         ; histc_aot.py:41:34
	s_ashr_i32 s17, s16, 31
	.loc	1 40 39                         ; histc_aot.py:40:39
	s_nop 0
	v_cndmask_b32_e32 v3, 0, v5, vcc
	v_cndmask_b32_e32 v2, 0, v4, vcc
	.loc	1 41 34                         ; histc_aot.py:41:34
	v_cmp_gt_i64_e32 vcc, s[16:17], v[2:3]
	.loc	1 46 37                         ; histc_aot.py:46:37
	v_mov_b32_e32 v5, 0
	.loc	1 41 50                         ; histc_aot.py:41:50
	s_nop 0
	v_cndmask_b32_e32 v3, v11, v3, vcc
	v_cndmask_b32_e32 v2, v12, v2, vcc
	.loc	1 43 24                         ; histc_aot.py:43:24
	s_and_b64 vcc, s[10:11], s[6:7]
	.loc	1 46 37                         ; histc_aot.py:46:37
	v_cndmask_b32_e64 v4, 0, 1, vcc
	v_mov_b32_e32 v11, 0
	.loc	1 46 28 is_stmt 0               ; histc_aot.py:46:28
	v_lshl_add_u64 v[2:3], v[2:3], 2, s[4:5]
	.loc	1 46 37                         ; histc_aot.py:46:37
	v_add_u32_dpp v0, v4, v4 row_shr:1 row_mask:0xf bank_mask:0xf bound_ctrl:1
	v_mov_b32_dpp v5, v4 row_shr:2 row_mask:0xf bank_mask:0xf
	v_mov_b32_dpp v11, v4 row_shr:3 row_mask:0xf bank_mask:0xf
	v_add3_u32 v0, v0, v5, v11
	v_mov_b32_e32 v12, 0
	s_nop 0
	v_add_u32_dpp v0, v0, v0 row_shr:4 row_mask:0xf bank_mask:0xe
	s_nop 1
	v_add_u32_dpp v0, v0, v0 row_shr:8 row_mask:0xf bank_mask:0xc
	s_nop 1
	v_add_u32_dpp v0, v0, v0 row_bcast:15 row_mask:0xa bank_mask:0xf
	s_nop 1
	v_add_u32_dpp v0, v0, v0 row_bcast:31 row_mask:0xc bank_mask:0xf
	v_cndmask_b32_e32 v5, 0, v0, vcc
	v_lshl_add_u32 v11, v5, 2, -4
	v_bfrev_b32_e32 v0, 0.5
	v_cmp_ne_u32_e32 vcc, 0, v5
	s_nop 1
	v_cndmask_b32_e32 v5, v0, v11, vcc
	v_mov_b32_e32 v11, 1.0
	ds_permute_b32 v13, v5, v11
	ds_permute_b32 v2, v5, v2
	;; [unrolled: 1-line block ×3, first 2 shown]
	v_cmp_ne_u32_e32 vcc, 0, v4
	s_bcnt1_i32_b64 s6, vcc
	v_cmp_gt_u32_e32 vcc, s6, v6
	s_and_saveexec_b64 s[6:7], vcc
	s_cbranch_execz .LBB0_17
; %bb.9:
	v_mov_b32_e32 v4, 0
	v_mov_b32_e32 v5, 0
	s_waitcnt lgkmcnt(0)
	v_lshl_add_u64 v[14:15], v[2:3], 0, 4
	v_mov_b32_dpp v4, v2 wave_shl:1 row_mask:0xf bank_mask:0xf
	v_mov_b32_dpp v5, v3 wave_shl:1 row_mask:0xf bank_mask:0xf
	v_cmp_eq_u64_e32 vcc, v[14:15], v[4:5]
	s_lshr_b64 s[10:11], vcc, 1
	s_and_b32 s11, s11, 0x55555555
	s_and_b32 s10, s10, 0x55555555
	s_sub_u32 s10, vcc_lo, s10
	s_mov_b32 s20, 0x33333333
	s_subb_u32 s11, vcc_hi, s11
	s_mov_b32 s21, s20
	s_and_b64 s[22:23], s[10:11], s[20:21]
	s_lshr_b64 s[10:11], s[10:11], 2
	s_and_b64 s[10:11], s[10:11], s[20:21]
	s_add_u32 s10, s10, s22
	s_addc_u32 s11, s11, s23
	s_lshr_b64 s[20:21], s[10:11], 4
	s_add_u32 s10, s20, s10
	s_addc_u32 s11, s21, s11
	s_and_b32 s20, s10, 0xf0f0f0f
	s_and_b32 s11, s11, 0xf0f0f0f
	s_mul_i32 s10, s20, 0x1010101
	s_mul_hi_u32 s20, s20, 0x1010101
	s_add_i32 s20, s20, s10
	s_mul_i32 s11, s11, 0x1010101
	s_add_i32 s11, s20, s11
	v_mov_b32_e32 v4, -1
	v_bfrev_b32_e32 v5, -8
	v_cmp_gt_u64_e32 vcc, s[10:11], v[4:5]
	s_cbranch_vccnz .LBB0_15
; %bb.10:                               ; %.preheader14.preheader
	.loc	1 0 37                          ; histc_aot.py:0:37
	s_mov_b32 s20, 0
	s_mov_b64 s[10:11], 0
.LBB0_11:                               ; %.preheader14
                                        ; =>This Inner Loop Header: Depth=1
	.loc	1 46 37 is_stmt 1               ; histc_aot.py:46:37
	v_readfirstlane_b32 s22, v2
	v_readfirstlane_b32 s23, v3
	v_mov_b32_e32 v14, s20
	s_nop 0
	v_cmp_eq_u64_e64 s[22:23], s[22:23], v[2:3]
	s_bcnt1_i32_b64 s21, s[22:23]
	s_add_i32 s20, s20, s21
	v_mov_b64_e32 v[4:5], s[22:23]
	v_mov_b32_e32 v15, s21
	s_or_b64 s[10:11], s[22:23], s[10:11]
	s_andn2_b64 exec, exec, s[10:11]
	s_cbranch_execnz .LBB0_11
; %bb.12:
	.loc	1 0 37 is_stmt 0                ; histc_aot.py:0:37
	s_or_b64 exec, exec, s[10:11]
	.loc	1 46 37                         ; histc_aot.py:46:37
	v_mbcnt_lo_u32_b32 v4, v4, 0
	v_mbcnt_hi_u32_b32 v4, v5, v4
	v_sub_u32_e32 v5, v15, v4
	v_cmp_eq_u32_e32 vcc, 0, v4
	v_add_lshl_u32 v14, v4, v14, 2
	v_lshlrev_b32_e32 v5, 8, v5
	v_cndmask_b32_e64 v4, 0, 1, vcc
	v_or3_b32 v4, v5, v4, v14
	ds_permute_b32 v4, v14, v4
	ds_permute_b32 v2, v14, v2
	;; [unrolled: 1-line block ×4, first 2 shown]
	v_mov_b32_e32 v5, 1
	s_waitcnt lgkmcnt(3)
	v_cmp_ne_u32_sdwa vcc, v4, v5 src0_sel:BYTE_1 src1_sel:DWORD
	s_cbranch_vccz .LBB0_14
; %bb.13:
	s_waitcnt lgkmcnt(0)
	ds_bpermute_b32 v14, v4, v13 offset:128
	v_mov_b32_e32 v15, 32
	v_cmp_gt_u32_sdwa vcc, v4, v15 src0_sel:BYTE_1 src1_sel:DWORD
	v_mov_b32_e32 v16, 16
	s_waitcnt lgkmcnt(0)
	v_add_f32_e32 v14, v13, v14
	v_cndmask_b32_e32 v14, v13, v14, vcc
	ds_bpermute_b32 v15, v4, v14 offset:64
	v_cmp_gt_u32_sdwa vcc, v4, v16 src0_sel:BYTE_1 src1_sel:DWORD
	v_mov_b32_e32 v16, 8
	s_waitcnt lgkmcnt(0)
	v_add_f32_e32 v14, v14, v15
	v_cndmask_b32_e32 v14, v13, v14, vcc
	ds_bpermute_b32 v15, v4, v14 offset:32
	;; [unrolled: 6-line block ×4, first 2 shown]
	v_cmp_gt_u32_sdwa vcc, v4, v16 src0_sel:BYTE_1 src1_sel:DWORD
	s_waitcnt lgkmcnt(0)
	v_add_f32_e32 v14, v14, v15
	v_cndmask_b32_e32 v14, v13, v14, vcc
	ds_bpermute_b32 v15, v4, v14 offset:4
	v_cmp_gt_u32_sdwa vcc, v4, v5 src0_sel:BYTE_1 src1_sel:DWORD
	s_waitcnt lgkmcnt(0)
	v_add_f32_e32 v14, v14, v15
	v_cndmask_b32_e32 v13, v13, v14, vcc
.LBB0_14:
	v_and_b32_e32 v4, 1, v4
	v_cmp_eq_u32_e64 s[10:11], 1, v4
	s_and_b64 exec, exec, s[10:11]
	s_cbranch_execnz .LBB0_16
	s_branch .LBB0_17
.LBB0_15:
	.loc	1 0 37                          ; histc_aot.py:0:37
	s_mov_b64 s[10:11], -1
	s_and_b64 exec, exec, s[10:11]
	s_cbranch_execz .LBB0_17
.LBB0_16:
	.loc	1 46 37 is_stmt 1               ; histc_aot.py:46:37
	s_waitcnt lgkmcnt(0)
	global_atomic_add_f32 v[2:3], v13, off
.LBB0_17:
	.loc	1 0 37 is_stmt 0                ; histc_aot.py:0:37
	s_or_b64 exec, exec, s[6:7]
	.loc	1 31 34 is_stmt 1               ; histc_aot.py:31:34
	s_waitcnt lgkmcnt(1)
	v_subrev_f32_e32 v2, s8, v10
	.loc	1 31 45 is_stmt 0               ; histc_aot.py:31:45
	v_mul_f32_e32 v2, v2, v8
	.loc	1 31 53                         ; histc_aot.py:31:53
	s_waitcnt lgkmcnt(0)
	v_div_scale_f32 v3, s[6:7], v1, v1, v2
	v_rcp_f32_e32 v4, v3
	v_div_scale_f32 v5, vcc, v2, v1, v2
	.loc	1 37 50 is_stmt 1               ; histc_aot.py:37:50
	v_cmp_ge_f32_e64 s[6:7], s9, v10
	.loc	1 31 53                         ; histc_aot.py:31:53
	v_fma_f32 v13, -v3, v4, 1.0
	v_fmac_f32_e32 v4, v13, v4
	v_mul_f32_e32 v13, v5, v4
	v_fma_f32 v14, -v3, v13, v5
	v_fmac_f32_e32 v13, v14, v4
	v_fma_f32 v3, -v3, v13, v5
	v_div_fmas_f32 v3, v3, v4, v13
	v_div_fixup_f32 v2, v3, v1, v2
	.loc	1 31 23 is_stmt 0               ; histc_aot.py:31:23
	v_floor_f32_e32 v2, v2
	.loc	1 31 76                         ; histc_aot.py:31:76
	v_mul_f32_e64 v3, |v2|, s18
	v_floor_f32_e32 v3, v3
	v_fma_f32 v4, v3, s19, |v2|
	v_cvt_u32_f32_e32 v4, v4
	v_cvt_u32_f32_e32 v3, v3
	v_ashrrev_i32_e32 v2, 31, v2
	.loc	1 34 53 is_stmt 1               ; histc_aot.py:34:53
	v_mov_b32_e32 v5, s15
	.loc	1 31 76                         ; histc_aot.py:31:76
	v_xor_b32_e32 v4, v4, v2
	v_xor_b32_e32 v3, v3, v2
	v_sub_co_u32_e32 v4, vcc, v4, v2
	.loc	1 34 53                         ; histc_aot.py:34:53
	v_mov_b32_e32 v13, s14
	.loc	1 31 76                         ; histc_aot.py:31:76
	s_nop 0
	v_subb_co_u32_e32 v2, vcc, v3, v2, vcc
	.loc	1 34 34                         ; histc_aot.py:34:34
	v_cmp_eq_f32_e32 vcc, s9, v10
	.loc	1 34 53 is_stmt 0               ; histc_aot.py:34:53
	s_nop 1
	v_cndmask_b32_e32 v3, v2, v5, vcc
	v_cndmask_b32_e32 v2, v4, v13, vcc
	.loc	1 37 27 is_stmt 1               ; histc_aot.py:37:27
	v_cmp_le_f32_e32 vcc, s8, v10
	.loc	1 37 39 is_stmt 0               ; histc_aot.py:37:39
	s_and_b64 s[6:7], vcc, s[6:7]
	.loc	1 40 39 is_stmt 1               ; histc_aot.py:40:39
	v_cmp_lt_i64_e32 vcc, 0, v[2:3]
	.loc	1 46 37                         ; histc_aot.py:46:37
	v_mov_b32_e32 v10, 0
	.loc	1 40 39                         ; histc_aot.py:40:39
	s_nop 0
	v_cndmask_b32_e32 v3, 0, v3, vcc
	v_cndmask_b32_e32 v2, 0, v2, vcc
	.loc	1 41 34                         ; histc_aot.py:41:34
	v_cmp_gt_i64_e32 vcc, s[16:17], v[2:3]
	.loc	1 41 50 is_stmt 0               ; histc_aot.py:41:50
	s_nop 1
	v_cndmask_b32_e32 v3, v5, v3, vcc
	v_cndmask_b32_e32 v2, v13, v2, vcc
	.loc	1 43 24 is_stmt 1               ; histc_aot.py:43:24
	s_and_b64 vcc, s[12:13], s[6:7]
	.loc	1 46 37                         ; histc_aot.py:46:37
	v_cndmask_b32_e64 v4, 0, 1, vcc
	.loc	1 46 28 is_stmt 0               ; histc_aot.py:46:28
	v_lshl_add_u64 v[2:3], v[2:3], 2, s[4:5]
	.loc	1 46 37                         ; histc_aot.py:46:37
	s_nop 0
	v_add_u32_dpp v5, v4, v4 row_shr:1 row_mask:0xf bank_mask:0xf bound_ctrl:1
	v_mov_b32_dpp v10, v4 row_shr:2 row_mask:0xf bank_mask:0xf
	v_mov_b32_dpp v12, v4 row_shr:3 row_mask:0xf bank_mask:0xf
	v_add3_u32 v5, v5, v10, v12
	s_nop 1
	v_add_u32_dpp v5, v5, v5 row_shr:4 row_mask:0xf bank_mask:0xe
	s_nop 1
	v_add_u32_dpp v5, v5, v5 row_shr:8 row_mask:0xf bank_mask:0xc
	s_nop 1
	v_add_u32_dpp v5, v5, v5 row_bcast:15 row_mask:0xa bank_mask:0xf
	s_nop 1
	v_add_u32_dpp v5, v5, v5 row_bcast:31 row_mask:0xc bank_mask:0xf
	v_cndmask_b32_e32 v5, 0, v5, vcc
	v_lshl_add_u32 v10, v5, 2, -4
	v_cmp_ne_u32_e32 vcc, 0, v5
	s_nop 1
	v_cndmask_b32_e32 v5, v0, v10, vcc
	ds_permute_b32 v0, v5, v11
	ds_permute_b32 v2, v5, v2
	;; [unrolled: 1-line block ×3, first 2 shown]
	v_cmp_ne_u32_e32 vcc, 0, v4
	s_bcnt1_i32_b64 s6, vcc
	v_cmp_gt_u32_e32 vcc, s6, v6
	s_and_saveexec_b64 s[6:7], vcc
	s_cbranch_execz .LBB0_26
; %bb.18:
	.loc	1 0 37                          ; histc_aot.py:0:37
	v_mov_b32_e32 v5, 0
	.loc	1 46 37                         ; histc_aot.py:46:37
	v_mov_b32_e32 v4, 0
	s_waitcnt lgkmcnt(0)
	v_lshl_add_u64 v[10:11], v[2:3], 0, 4
	v_mov_b32_dpp v5, v3 wave_shl:1 row_mask:0xf bank_mask:0xf
	v_mov_b32_dpp v4, v2 wave_shl:1 row_mask:0xf bank_mask:0xf
	v_cmp_eq_u64_e32 vcc, v[10:11], v[4:5]
	s_lshr_b64 s[10:11], vcc, 1
	s_and_b32 s11, s11, 0x55555555
	s_and_b32 s10, s10, 0x55555555
	s_sub_u32 s10, vcc_lo, s10
	s_mov_b32 s12, 0x33333333
	s_subb_u32 s11, vcc_hi, s11
	s_mov_b32 s13, s12
	s_and_b64 s[18:19], s[10:11], s[12:13]
	s_lshr_b64 s[10:11], s[10:11], 2
	s_and_b64 s[10:11], s[10:11], s[12:13]
	s_add_u32 s10, s10, s18
	s_addc_u32 s11, s11, s19
	s_lshr_b64 s[12:13], s[10:11], 4
	s_add_u32 s10, s12, s10
	s_addc_u32 s11, s13, s11
	s_and_b32 s12, s10, 0xf0f0f0f
	s_and_b32 s11, s11, 0xf0f0f0f
	s_mul_i32 s10, s12, 0x1010101
	s_mul_hi_u32 s12, s12, 0x1010101
	s_add_i32 s12, s12, s10
	s_mul_i32 s11, s11, 0x1010101
	s_add_i32 s11, s12, s11
	v_mov_b32_e32 v4, -1
	v_bfrev_b32_e32 v5, -8
	v_cmp_gt_u64_e32 vcc, s[10:11], v[4:5]
	s_cbranch_vccnz .LBB0_24
; %bb.19:                               ; %.preheader13.preheader
	.loc	1 0 37                          ; histc_aot.py:0:37
	s_mov_b32 s12, 0
	s_mov_b64 s[10:11], 0
.LBB0_20:                               ; %.preheader13
                                        ; =>This Inner Loop Header: Depth=1
	.loc	1 46 37 is_stmt 1               ; histc_aot.py:46:37
	v_readfirstlane_b32 s18, v2
	v_readfirstlane_b32 s19, v3
	v_mov_b32_e32 v10, s12
	s_nop 0
	v_cmp_eq_u64_e64 s[18:19], s[18:19], v[2:3]
	s_bcnt1_i32_b64 s13, s[18:19]
	s_add_i32 s12, s12, s13
	v_mov_b64_e32 v[4:5], s[18:19]
	v_mov_b32_e32 v11, s13
	s_or_b64 s[10:11], s[18:19], s[10:11]
	s_andn2_b64 exec, exec, s[10:11]
	s_cbranch_execnz .LBB0_20
; %bb.21:
	.loc	1 0 37 is_stmt 0                ; histc_aot.py:0:37
	s_or_b64 exec, exec, s[10:11]
	.loc	1 46 37                         ; histc_aot.py:46:37
	v_mbcnt_lo_u32_b32 v4, v4, 0
	v_mbcnt_hi_u32_b32 v4, v5, v4
	v_sub_u32_e32 v5, v11, v4
	v_cmp_eq_u32_e32 vcc, 0, v4
	v_add_lshl_u32 v10, v4, v10, 2
	v_lshlrev_b32_e32 v5, 8, v5
	v_cndmask_b32_e64 v4, 0, 1, vcc
	v_or3_b32 v4, v5, v4, v10
	ds_permute_b32 v4, v10, v4
	ds_permute_b32 v2, v10, v2
	;; [unrolled: 1-line block ×4, first 2 shown]
	v_mov_b32_e32 v5, 1
	s_waitcnt lgkmcnt(3)
	v_cmp_ne_u32_sdwa vcc, v4, v5 src0_sel:BYTE_1 src1_sel:DWORD
	s_cbranch_vccz .LBB0_23
; %bb.22:
	s_waitcnt lgkmcnt(0)
	ds_bpermute_b32 v10, v4, v0 offset:128
	v_mov_b32_e32 v11, 32
	v_cmp_gt_u32_sdwa vcc, v4, v11 src0_sel:BYTE_1 src1_sel:DWORD
	v_mov_b32_e32 v12, 16
	s_waitcnt lgkmcnt(0)
	v_add_f32_e32 v10, v0, v10
	v_cndmask_b32_e32 v10, v0, v10, vcc
	ds_bpermute_b32 v11, v4, v10 offset:64
	v_cmp_gt_u32_sdwa vcc, v4, v12 src0_sel:BYTE_1 src1_sel:DWORD
	v_mov_b32_e32 v12, 8
	s_waitcnt lgkmcnt(0)
	v_add_f32_e32 v10, v10, v11
	v_cndmask_b32_e32 v10, v0, v10, vcc
	ds_bpermute_b32 v11, v4, v10 offset:32
	;; [unrolled: 6-line block ×4, first 2 shown]
	v_cmp_gt_u32_sdwa vcc, v4, v12 src0_sel:BYTE_1 src1_sel:DWORD
	s_waitcnt lgkmcnt(0)
	v_add_f32_e32 v10, v10, v11
	v_cndmask_b32_e32 v10, v0, v10, vcc
	ds_bpermute_b32 v11, v4, v10 offset:4
	v_cmp_gt_u32_sdwa vcc, v4, v5 src0_sel:BYTE_1 src1_sel:DWORD
	s_waitcnt lgkmcnt(0)
	v_add_f32_e32 v10, v10, v11
	v_cndmask_b32_e32 v0, v0, v10, vcc
.LBB0_23:
	v_and_b32_e32 v4, 1, v4
	v_cmp_eq_u32_e64 s[10:11], 1, v4
	s_and_b64 exec, exec, s[10:11]
	s_cbranch_execnz .LBB0_25
	s_branch .LBB0_26
.LBB0_24:
	.loc	1 0 37                          ; histc_aot.py:0:37
	s_mov_b64 s[10:11], -1
	s_and_b64 exec, exec, s[10:11]
	s_cbranch_execz .LBB0_26
.LBB0_25:
	.loc	1 46 37 is_stmt 1               ; histc_aot.py:46:37
	s_waitcnt lgkmcnt(0)
	global_atomic_add_f32 v[2:3], v0, off
.LBB0_26:
	.loc	1 0 37 is_stmt 0                ; histc_aot.py:0:37
	s_or_b64 exec, exec, s[6:7]
	.loc	1 31 34 is_stmt 1               ; histc_aot.py:31:34
	s_waitcnt lgkmcnt(0)
	v_subrev_f32_e32 v0, s8, v9
	.loc	1 31 45 is_stmt 0               ; histc_aot.py:31:45
	v_mul_f32_e32 v0, v0, v8
	.loc	1 31 53                         ; histc_aot.py:31:53
	v_div_scale_f32 v2, s[6:7], v1, v1, v0
	v_rcp_f32_e32 v3, v2
	v_div_scale_f32 v4, vcc, v0, v1, v0
	s_mov_b32 s10, 0x2f800000
	v_fma_f32 v5, -v2, v3, 1.0
	v_fmac_f32_e32 v3, v5, v3
	v_mul_f32_e32 v5, v4, v3
	v_fma_f32 v10, -v2, v5, v4
	v_fmac_f32_e32 v5, v10, v3
	v_fma_f32 v2, -v2, v5, v4
	v_div_fmas_f32 v2, v2, v3, v5
	v_div_fixup_f32 v0, v2, v1, v0
	.loc	1 31 23                         ; histc_aot.py:31:23
	v_floor_f32_e32 v0, v0
	.loc	1 31 76                         ; histc_aot.py:31:76
	v_mul_f32_e64 v2, |v0|, s10
	v_floor_f32_e32 v2, v2
	s_mov_b32 s11, 0xcf800000
	v_fma_f32 v3, v2, s11, |v0|
	v_cvt_u32_f32_e32 v3, v3
	v_cvt_u32_f32_e32 v2, v2
	v_ashrrev_i32_e32 v0, 31, v0
	.loc	1 34 53 is_stmt 1               ; histc_aot.py:34:53
	v_mov_b32_e32 v5, s15
	.loc	1 31 76                         ; histc_aot.py:31:76
	v_xor_b32_e32 v3, v3, v0
	v_xor_b32_e32 v2, v2, v0
	v_sub_co_u32_e32 v4, vcc, v3, v0
	.loc	1 37 50                         ; histc_aot.py:37:50
	v_cmp_ge_f32_e64 s[6:7], s9, v9
	.loc	1 31 76                         ; histc_aot.py:31:76
	s_nop 0
	v_subb_co_u32_e32 v0, vcc, v2, v0, vcc
	.loc	1 34 34                         ; histc_aot.py:34:34
	v_cmp_eq_f32_e32 vcc, s9, v9
	v_mov_b32_e32 v10, 0
	.loc	1 34 53 is_stmt 0               ; histc_aot.py:34:53
	s_nop 0
	v_cndmask_b32_e32 v3, v0, v5, vcc
	v_mov_b32_e32 v0, s14
	v_cndmask_b32_e32 v2, v4, v0, vcc
	.loc	1 37 27 is_stmt 1               ; histc_aot.py:37:27
	v_cmp_le_f32_e32 vcc, s8, v9
	.loc	1 37 39 is_stmt 0               ; histc_aot.py:37:39
	s_and_b64 s[6:7], vcc, s[6:7]
	.loc	1 40 39 is_stmt 1               ; histc_aot.py:40:39
	v_cmp_lt_i64_e32 vcc, 0, v[2:3]
	.loc	1 46 37                         ; histc_aot.py:46:37
	v_mov_b32_e32 v9, 0
	.loc	1 40 39                         ; histc_aot.py:40:39
	s_nop 0
	v_cndmask_b32_e32 v3, 0, v3, vcc
	v_cndmask_b32_e32 v2, 0, v2, vcc
	.loc	1 41 34                         ; histc_aot.py:41:34
	v_cmp_gt_i64_e32 vcc, s[16:17], v[2:3]
	.loc	1 41 50 is_stmt 0               ; histc_aot.py:41:50
	s_nop 1
	v_cndmask_b32_e32 v3, v5, v3, vcc
	v_cndmask_b32_e32 v2, v0, v2, vcc
	.loc	1 43 24 is_stmt 1               ; histc_aot.py:43:24
	s_and_b64 vcc, s[2:3], s[6:7]
	.loc	1 46 37                         ; histc_aot.py:46:37
	v_cndmask_b32_e64 v4, 0, 1, vcc
	v_mov_b32_e32 v5, 0
	.loc	1 46 28 is_stmt 0               ; histc_aot.py:46:28
	v_lshl_add_u64 v[2:3], v[2:3], 2, s[4:5]
	.loc	1 46 37                         ; histc_aot.py:46:37
	v_add_u32_dpp v0, v4, v4 row_shr:1 row_mask:0xf bank_mask:0xf bound_ctrl:1
	v_mov_b32_dpp v5, v4 row_shr:2 row_mask:0xf bank_mask:0xf
	v_mov_b32_dpp v9, v4 row_shr:3 row_mask:0xf bank_mask:0xf
	v_add3_u32 v0, v0, v5, v9
	s_nop 1
	v_add_u32_dpp v0, v0, v0 row_shr:4 row_mask:0xf bank_mask:0xe
	s_nop 1
	v_add_u32_dpp v0, v0, v0 row_shr:8 row_mask:0xf bank_mask:0xc
	s_nop 1
	v_add_u32_dpp v0, v0, v0 row_bcast:15 row_mask:0xa bank_mask:0xf
	s_nop 1
	v_add_u32_dpp v0, v0, v0 row_bcast:31 row_mask:0xc bank_mask:0xf
	v_cndmask_b32_e32 v5, 0, v0, vcc
	v_lshl_add_u32 v9, v5, 2, -4
	v_bfrev_b32_e32 v0, 0.5
	v_cmp_ne_u32_e32 vcc, 0, v5
	s_nop 1
	v_cndmask_b32_e32 v5, v0, v9, vcc
	v_mov_b32_e32 v9, 1.0
	ds_permute_b32 v11, v5, v9
	ds_permute_b32 v2, v5, v2
	;; [unrolled: 1-line block ×3, first 2 shown]
	v_cmp_ne_u32_e32 vcc, 0, v4
	s_bcnt1_i32_b64 s2, vcc
	v_cmp_gt_u32_e32 vcc, s2, v6
	s_and_saveexec_b64 s[2:3], vcc
	s_cbranch_execz .LBB0_35
; %bb.27:
	v_mov_b32_e32 v4, 0
	v_mov_b32_e32 v5, 0
	s_waitcnt lgkmcnt(0)
	v_lshl_add_u64 v[12:13], v[2:3], 0, 4
	v_mov_b32_dpp v4, v2 wave_shl:1 row_mask:0xf bank_mask:0xf
	v_mov_b32_dpp v5, v3 wave_shl:1 row_mask:0xf bank_mask:0xf
	v_cmp_eq_u64_e32 vcc, v[12:13], v[4:5]
	s_lshr_b64 s[6:7], vcc, 1
	s_and_b32 s7, s7, 0x55555555
	s_and_b32 s6, s6, 0x55555555
	s_sub_u32 s6, vcc_lo, s6
	s_mov_b32 s12, 0x33333333
	s_subb_u32 s7, vcc_hi, s7
	s_mov_b32 s13, s12
	s_and_b64 s[18:19], s[6:7], s[12:13]
	s_lshr_b64 s[6:7], s[6:7], 2
	s_and_b64 s[6:7], s[6:7], s[12:13]
	s_add_u32 s6, s6, s18
	s_addc_u32 s7, s7, s19
	s_lshr_b64 s[12:13], s[6:7], 4
	s_add_u32 s6, s12, s6
	s_addc_u32 s7, s13, s7
	s_and_b32 s12, s6, 0xf0f0f0f
	s_and_b32 s7, s7, 0xf0f0f0f
	s_mul_i32 s6, s12, 0x1010101
	s_mul_hi_u32 s12, s12, 0x1010101
	s_add_i32 s12, s12, s6
	s_mul_i32 s7, s7, 0x1010101
	s_add_i32 s7, s12, s7
	v_mov_b32_e32 v4, -1
	v_bfrev_b32_e32 v5, -8
	v_cmp_gt_u64_e32 vcc, s[6:7], v[4:5]
	s_cbranch_vccnz .LBB0_33
; %bb.28:                               ; %.preheader12.preheader
	.loc	1 0 37                          ; histc_aot.py:0:37
	s_mov_b32 s12, 0
	s_mov_b64 s[6:7], 0
.LBB0_29:                               ; %.preheader12
                                        ; =>This Inner Loop Header: Depth=1
	.loc	1 46 37 is_stmt 1               ; histc_aot.py:46:37
	v_readfirstlane_b32 s18, v2
	v_readfirstlane_b32 s19, v3
	v_mov_b32_e32 v12, s12
	s_nop 0
	v_cmp_eq_u64_e64 s[18:19], s[18:19], v[2:3]
	s_bcnt1_i32_b64 s13, s[18:19]
	s_add_i32 s12, s12, s13
	v_mov_b64_e32 v[4:5], s[18:19]
	v_mov_b32_e32 v13, s13
	s_or_b64 s[6:7], s[18:19], s[6:7]
	s_andn2_b64 exec, exec, s[6:7]
	s_cbranch_execnz .LBB0_29
; %bb.30:
	.loc	1 0 37 is_stmt 0                ; histc_aot.py:0:37
	s_or_b64 exec, exec, s[6:7]
	.loc	1 46 37                         ; histc_aot.py:46:37
	v_mbcnt_lo_u32_b32 v4, v4, 0
	v_mbcnt_hi_u32_b32 v4, v5, v4
	v_sub_u32_e32 v5, v13, v4
	v_cmp_eq_u32_e32 vcc, 0, v4
	v_add_lshl_u32 v12, v4, v12, 2
	v_lshlrev_b32_e32 v5, 8, v5
	v_cndmask_b32_e64 v4, 0, 1, vcc
	v_or3_b32 v4, v5, v4, v12
	ds_permute_b32 v4, v12, v4
	ds_permute_b32 v2, v12, v2
	;; [unrolled: 1-line block ×4, first 2 shown]
	v_mov_b32_e32 v5, 1
	s_waitcnt lgkmcnt(3)
	v_cmp_ne_u32_sdwa vcc, v4, v5 src0_sel:BYTE_1 src1_sel:DWORD
	s_cbranch_vccz .LBB0_32
; %bb.31:
	s_waitcnt lgkmcnt(0)
	ds_bpermute_b32 v12, v4, v11 offset:128
	v_mov_b32_e32 v13, 32
	v_cmp_gt_u32_sdwa vcc, v4, v13 src0_sel:BYTE_1 src1_sel:DWORD
	v_mov_b32_e32 v14, 16
	s_waitcnt lgkmcnt(0)
	v_add_f32_e32 v12, v11, v12
	v_cndmask_b32_e32 v12, v11, v12, vcc
	ds_bpermute_b32 v13, v4, v12 offset:64
	v_cmp_gt_u32_sdwa vcc, v4, v14 src0_sel:BYTE_1 src1_sel:DWORD
	v_mov_b32_e32 v14, 8
	s_waitcnt lgkmcnt(0)
	v_add_f32_e32 v12, v12, v13
	v_cndmask_b32_e32 v12, v11, v12, vcc
	ds_bpermute_b32 v13, v4, v12 offset:32
	;; [unrolled: 6-line block ×4, first 2 shown]
	v_cmp_gt_u32_sdwa vcc, v4, v14 src0_sel:BYTE_1 src1_sel:DWORD
	s_waitcnt lgkmcnt(0)
	v_add_f32_e32 v12, v12, v13
	v_cndmask_b32_e32 v12, v11, v12, vcc
	ds_bpermute_b32 v13, v4, v12 offset:4
	v_cmp_gt_u32_sdwa vcc, v4, v5 src0_sel:BYTE_1 src1_sel:DWORD
	s_waitcnt lgkmcnt(0)
	v_add_f32_e32 v12, v12, v13
	v_cndmask_b32_e32 v11, v11, v12, vcc
.LBB0_32:
	v_and_b32_e32 v4, 1, v4
	v_cmp_eq_u32_e64 s[6:7], 1, v4
	s_and_b64 exec, exec, s[6:7]
	s_cbranch_execnz .LBB0_34
	s_branch .LBB0_35
.LBB0_33:
	.loc	1 0 37                          ; histc_aot.py:0:37
	s_mov_b64 s[6:7], -1
	s_and_b64 exec, exec, s[6:7]
	s_cbranch_execz .LBB0_35
.LBB0_34:
	.loc	1 46 37 is_stmt 1               ; histc_aot.py:46:37
	s_waitcnt lgkmcnt(0)
	global_atomic_add_f32 v[2:3], v11, off
.LBB0_35:
	.loc	1 0 37 is_stmt 0                ; histc_aot.py:0:37
	s_or_b64 exec, exec, s[2:3]
	.loc	1 31 34 is_stmt 1               ; histc_aot.py:31:34
	s_waitcnt lgkmcnt(1)
	v_subrev_f32_e32 v2, s8, v7
	.loc	1 31 45 is_stmt 0               ; histc_aot.py:31:45
	v_mul_f32_e32 v2, v2, v8
	.loc	1 31 53                         ; histc_aot.py:31:53
	s_waitcnt lgkmcnt(0)
	v_div_scale_f32 v3, s[2:3], v1, v1, v2
	v_rcp_f32_e32 v4, v3
	v_div_scale_f32 v5, vcc, v2, v1, v2
	.loc	1 37 50 is_stmt 1               ; histc_aot.py:37:50
	v_cmp_ge_f32_e64 s[2:3], s9, v7
	.loc	1 31 53                         ; histc_aot.py:31:53
	v_fma_f32 v8, -v3, v4, 1.0
	v_fmac_f32_e32 v4, v8, v4
	v_mul_f32_e32 v8, v5, v4
	v_fma_f32 v11, -v3, v8, v5
	v_fmac_f32_e32 v8, v11, v4
	v_fma_f32 v3, -v3, v8, v5
	v_div_fmas_f32 v3, v3, v4, v8
	v_div_fixup_f32 v1, v3, v1, v2
	.loc	1 31 23 is_stmt 0               ; histc_aot.py:31:23
	v_floor_f32_e32 v1, v1
	.loc	1 31 76                         ; histc_aot.py:31:76
	v_mul_f32_e64 v2, |v1|, s10
	v_floor_f32_e32 v2, v2
	v_fma_f32 v3, v2, s11, |v1|
	v_cvt_u32_f32_e32 v3, v3
	v_cvt_u32_f32_e32 v2, v2
	v_ashrrev_i32_e32 v1, 31, v1
	.loc	1 34 53 is_stmt 1               ; histc_aot.py:34:53
	v_mov_b32_e32 v5, s15
	.loc	1 31 76                         ; histc_aot.py:31:76
	v_xor_b32_e32 v3, v3, v1
	v_xor_b32_e32 v2, v2, v1
	v_sub_co_u32_e32 v4, vcc, v3, v1
	s_nop 1
	v_subb_co_u32_e32 v1, vcc, v2, v1, vcc
	.loc	1 34 34                         ; histc_aot.py:34:34
	v_cmp_eq_f32_e32 vcc, s9, v7
	.loc	1 34 53 is_stmt 0               ; histc_aot.py:34:53
	s_nop 1
	v_cndmask_b32_e32 v3, v1, v5, vcc
	v_mov_b32_e32 v1, s14
	v_cndmask_b32_e32 v2, v4, v1, vcc
	.loc	1 37 27 is_stmt 1               ; histc_aot.py:37:27
	v_cmp_le_f32_e32 vcc, s8, v7
	.loc	1 37 39 is_stmt 0               ; histc_aot.py:37:39
	s_and_b64 s[2:3], vcc, s[2:3]
	.loc	1 40 39 is_stmt 1               ; histc_aot.py:40:39
	v_cmp_lt_i64_e32 vcc, 0, v[2:3]
	.loc	1 46 37                         ; histc_aot.py:46:37
	v_mov_b32_e32 v4, 0
	.loc	1 40 39                         ; histc_aot.py:40:39
	s_nop 0
	v_cndmask_b32_e32 v3, 0, v3, vcc
	v_cndmask_b32_e32 v2, 0, v2, vcc
	.loc	1 41 34                         ; histc_aot.py:41:34
	v_cmp_gt_i64_e32 vcc, s[16:17], v[2:3]
	.loc	1 41 50 is_stmt 0               ; histc_aot.py:41:50
	s_nop 1
	v_cndmask_b32_e32 v3, v5, v3, vcc
	v_cndmask_b32_e32 v2, v1, v2, vcc
	.loc	1 43 24 is_stmt 1               ; histc_aot.py:43:24
	s_and_b64 vcc, s[0:1], s[2:3]
	.loc	1 46 37                         ; histc_aot.py:46:37
	v_cndmask_b32_e64 v5, 0, 1, vcc
	.loc	1 46 28 is_stmt 0               ; histc_aot.py:46:28
	v_lshl_add_u64 v[2:3], v[2:3], 2, s[4:5]
	.loc	1 46 37                         ; histc_aot.py:46:37
	s_nop 0
	v_add_u32_dpp v1, v5, v5 row_shr:1 row_mask:0xf bank_mask:0xf bound_ctrl:1
	v_mov_b32_dpp v4, v5 row_shr:2 row_mask:0xf bank_mask:0xf
	v_mov_b32_dpp v10, v5 row_shr:3 row_mask:0xf bank_mask:0xf
	v_add3_u32 v1, v1, v4, v10
	s_nop 1
	v_add_u32_dpp v1, v1, v1 row_shr:4 row_mask:0xf bank_mask:0xe
	s_nop 1
	v_add_u32_dpp v1, v1, v1 row_shr:8 row_mask:0xf bank_mask:0xc
	s_nop 1
	v_add_u32_dpp v1, v1, v1 row_bcast:15 row_mask:0xa bank_mask:0xf
	s_nop 1
	v_add_u32_dpp v1, v1, v1 row_bcast:31 row_mask:0xc bank_mask:0xf
	v_cndmask_b32_e32 v1, 0, v1, vcc
	v_lshl_add_u32 v4, v1, 2, -4
	v_cmp_ne_u32_e32 vcc, 0, v1
	s_nop 1
	v_cndmask_b32_e32 v1, v0, v4, vcc
	ds_permute_b32 v4, v1, v9
	ds_permute_b32 v0, v1, v2
	;; [unrolled: 1-line block ×3, first 2 shown]
	v_cmp_ne_u32_e32 vcc, 0, v5
	s_bcnt1_i32_b64 s0, vcc
	v_cmp_gt_u32_e32 vcc, s0, v6
	s_and_saveexec_b64 s[0:1], vcc
	s_cbranch_execz .LBB0_44
; %bb.36:
	.loc	1 0 37                          ; histc_aot.py:0:37
	v_mov_b32_e32 v3, 0
	.loc	1 46 37                         ; histc_aot.py:46:37
	v_mov_b32_e32 v2, 0
	s_waitcnt lgkmcnt(0)
	v_lshl_add_u64 v[6:7], v[0:1], 0, 4
	v_mov_b32_dpp v3, v1 wave_shl:1 row_mask:0xf bank_mask:0xf
	v_mov_b32_dpp v2, v0 wave_shl:1 row_mask:0xf bank_mask:0xf
	v_cmp_eq_u64_e32 vcc, v[6:7], v[2:3]
	s_lshr_b64 s[0:1], vcc, 1
	s_and_b32 s1, s1, 0x55555555
	s_and_b32 s0, s0, 0x55555555
	s_sub_u32 s0, vcc_lo, s0
	s_mov_b32 s2, 0x33333333
	s_subb_u32 s1, vcc_hi, s1
	s_mov_b32 s3, s2
	s_and_b64 s[4:5], s[0:1], s[2:3]
	s_lshr_b64 s[0:1], s[0:1], 2
	s_and_b64 s[0:1], s[0:1], s[2:3]
	s_add_u32 s0, s0, s4
	s_addc_u32 s1, s1, s5
	s_lshr_b64 s[2:3], s[0:1], 4
	s_add_u32 s0, s2, s0
	s_addc_u32 s1, s3, s1
	s_and_b32 s2, s0, 0xf0f0f0f
	s_and_b32 s1, s1, 0xf0f0f0f
	s_mul_i32 s0, s2, 0x1010101
	s_mul_hi_u32 s2, s2, 0x1010101
	s_add_i32 s2, s2, s0
	s_mul_i32 s1, s1, 0x1010101
	s_add_i32 s1, s2, s1
	v_mov_b32_e32 v2, -1
	v_bfrev_b32_e32 v3, -8
	v_cmp_gt_u64_e32 vcc, s[0:1], v[2:3]
	s_cbranch_vccnz .LBB0_42
; %bb.37:                               ; %.preheader.preheader
	.loc	1 0 37                          ; histc_aot.py:0:37
	s_mov_b32 s2, 0
	s_mov_b64 s[0:1], 0
.LBB0_38:                               ; %.preheader
                                        ; =>This Inner Loop Header: Depth=1
	.loc	1 46 37 is_stmt 1               ; histc_aot.py:46:37
	v_readfirstlane_b32 s4, v0
	v_readfirstlane_b32 s5, v1
	v_mov_b32_e32 v5, s2
	s_nop 0
	v_cmp_eq_u64_e64 s[4:5], s[4:5], v[0:1]
	s_bcnt1_i32_b64 s3, s[4:5]
	s_add_i32 s2, s2, s3
	v_mov_b64_e32 v[2:3], s[4:5]
	v_mov_b32_e32 v6, s3
	s_or_b64 s[0:1], s[4:5], s[0:1]
	s_andn2_b64 exec, exec, s[0:1]
	s_cbranch_execnz .LBB0_38
; %bb.39:
	.loc	1 0 37 is_stmt 0                ; histc_aot.py:0:37
	s_or_b64 exec, exec, s[0:1]
	.loc	1 46 37                         ; histc_aot.py:46:37
	v_mbcnt_lo_u32_b32 v2, v2, 0
	v_mbcnt_hi_u32_b32 v2, v3, v2
	v_sub_u32_e32 v3, v6, v2
	v_cmp_eq_u32_e32 vcc, 0, v2
	v_add_lshl_u32 v5, v2, v5, 2
	v_lshlrev_b32_e32 v3, 8, v3
	v_cndmask_b32_e64 v2, 0, 1, vcc
	v_or3_b32 v2, v3, v2, v5
	ds_permute_b32 v2, v5, v2
	ds_permute_b32 v0, v5, v0
	;; [unrolled: 1-line block ×4, first 2 shown]
	v_mov_b32_e32 v3, 1
	s_waitcnt lgkmcnt(3)
	v_cmp_ne_u32_sdwa vcc, v2, v3 src0_sel:BYTE_1 src1_sel:DWORD
	s_cbranch_vccz .LBB0_41
; %bb.40:
	s_waitcnt lgkmcnt(0)
	ds_bpermute_b32 v5, v2, v4 offset:128
	v_mov_b32_e32 v6, 32
	v_cmp_gt_u32_sdwa vcc, v2, v6 src0_sel:BYTE_1 src1_sel:DWORD
	v_mov_b32_e32 v7, 16
	s_waitcnt lgkmcnt(0)
	v_add_f32_e32 v5, v4, v5
	v_cndmask_b32_e32 v5, v4, v5, vcc
	ds_bpermute_b32 v6, v2, v5 offset:64
	v_cmp_gt_u32_sdwa vcc, v2, v7 src0_sel:BYTE_1 src1_sel:DWORD
	v_mov_b32_e32 v7, 8
	s_waitcnt lgkmcnt(0)
	v_add_f32_e32 v5, v5, v6
	v_cndmask_b32_e32 v5, v4, v5, vcc
	ds_bpermute_b32 v6, v2, v5 offset:32
	;; [unrolled: 6-line block ×4, first 2 shown]
	v_cmp_gt_u32_sdwa vcc, v2, v7 src0_sel:BYTE_1 src1_sel:DWORD
	s_waitcnt lgkmcnt(0)
	v_add_f32_e32 v5, v5, v6
	v_cndmask_b32_e32 v5, v4, v5, vcc
	ds_bpermute_b32 v6, v2, v5 offset:4
	v_cmp_gt_u32_sdwa vcc, v2, v3 src0_sel:BYTE_1 src1_sel:DWORD
	s_waitcnt lgkmcnt(0)
	v_add_f32_e32 v5, v5, v6
	v_cndmask_b32_e32 v4, v4, v5, vcc
.LBB0_41:
	v_and_b32_e32 v2, 1, v2
	v_cmp_eq_u32_e64 s[0:1], 1, v2
	s_and_b64 exec, exec, s[0:1]
	s_cbranch_execnz .LBB0_43
	s_branch .LBB0_44
.LBB0_42:
	.loc	1 0 37                          ; histc_aot.py:0:37
	s_mov_b64 s[0:1], -1
	s_and_b64 exec, exec, s[0:1]
	s_cbranch_execz .LBB0_44
.LBB0_43:
	.loc	1 46 37 is_stmt 1               ; histc_aot.py:46:37
	s_waitcnt lgkmcnt(0)
	global_atomic_add_f32 v[0:1], v4, off
.LBB0_44:
	.loc	1 46 4                          ; histc_aot.py:46:4
	s_endpgm
.Ltmp2:
	.section	.rodata,"a",@progbits
	.p2align	6, 0x0
	.amdhsa_kernel histc_kernel_simple
		.amdhsa_group_segment_fixed_size 0
		.amdhsa_private_segment_fixed_size 0
		.amdhsa_kernarg_size 48
		.amdhsa_user_sgpr_count 14
		.amdhsa_user_sgpr_dispatch_ptr 0
		.amdhsa_user_sgpr_queue_ptr 0
		.amdhsa_user_sgpr_kernarg_segment_ptr 1
		.amdhsa_user_sgpr_dispatch_id 0
		.amdhsa_user_sgpr_kernarg_preload_length 12
		.amdhsa_user_sgpr_kernarg_preload_offset 0
		.amdhsa_user_sgpr_private_segment_size 0
		.amdhsa_uses_dynamic_stack 0
		.amdhsa_enable_private_segment 0
		.amdhsa_system_sgpr_workgroup_id_x 1
		.amdhsa_system_sgpr_workgroup_id_y 0
		.amdhsa_system_sgpr_workgroup_id_z 0
		.amdhsa_system_sgpr_workgroup_info 0
		.amdhsa_system_vgpr_workitem_id 0
		.amdhsa_next_free_vgpr 17
		.amdhsa_next_free_sgpr 24
		.amdhsa_accum_offset 20
		.amdhsa_reserve_vcc 1
		.amdhsa_reserve_xnack_mask 1
		.amdhsa_float_round_mode_32 0
		.amdhsa_float_round_mode_16_64 0
		.amdhsa_float_denorm_mode_32 3
		.amdhsa_float_denorm_mode_16_64 3
		.amdhsa_dx10_clamp 1
		.amdhsa_ieee_mode 1
		.amdhsa_fp16_overflow 0
		.amdhsa_tg_split 0
		.amdhsa_exception_fp_ieee_invalid_op 0
		.amdhsa_exception_fp_denorm_src 0
		.amdhsa_exception_fp_ieee_div_zero 0
		.amdhsa_exception_fp_ieee_overflow 0
		.amdhsa_exception_fp_ieee_underflow 0
		.amdhsa_exception_fp_ieee_inexact 0
		.amdhsa_exception_int_div_zero 0
	.end_amdhsa_kernel
	.text
.Lfunc_end0:
	.size	histc_kernel_simple, .Lfunc_end0-histc_kernel_simple
	.cfi_endproc
                                        ; -- End function
	.set histc_kernel_simple.num_vgpr, 17
	.set histc_kernel_simple.num_agpr, 0
	.set histc_kernel_simple.numbered_sgpr, 24
	.set histc_kernel_simple.num_named_barrier, 0
	.set histc_kernel_simple.private_seg_size, 0
	.set histc_kernel_simple.uses_vcc, 1
	.set histc_kernel_simple.uses_flat_scratch, 0
	.set histc_kernel_simple.has_dyn_sized_stack, 0
	.set histc_kernel_simple.has_recursion, 0
	.set histc_kernel_simple.has_indirect_call, 0
	.section	.AMDGPU.csdata,"",@progbits
; Kernel info:
; codeLenInByte = 4448
; TotalNumSgprs: 30
; NumVgprs: 17
; NumAgprs: 0
; TotalNumVgprs: 17
; ScratchSize: 0
; MemoryBound: 0
; FloatMode: 240
; IeeeMode: 1
; LDSByteSize: 0 bytes/workgroup (compile time only)
; SGPRBlocks: 3
; VGPRBlocks: 2
; NumSGPRsForWavesPerEU: 30
; NumVGPRsForWavesPerEU: 17
; AccumOffset: 20
; Occupancy: 8
; WaveLimiterHint : 0
; COMPUTE_PGM_RSRC2:SCRATCH_EN: 0
; COMPUTE_PGM_RSRC2:USER_SGPR: 14
; COMPUTE_PGM_RSRC2:TRAP_HANDLER: 0
; COMPUTE_PGM_RSRC2:TGID_X_EN: 1
; COMPUTE_PGM_RSRC2:TGID_Y_EN: 0
; COMPUTE_PGM_RSRC2:TGID_Z_EN: 0
; COMPUTE_PGM_RSRC2:TIDIG_COMP_CNT: 0
; COMPUTE_PGM_RSRC3_GFX90A:ACCUM_OFFSET: 4
; COMPUTE_PGM_RSRC3_GFX90A:TG_SPLIT: 0
	.text
	.p2alignl 6, 3212836864
	.fill 256, 4, 3212836864
	.section	.AMDGPU.gpr_maximums,"",@progbits
	.set amdgpu.max_num_vgpr, 0
	.set amdgpu.max_num_agpr, 0
	.set amdgpu.max_num_sgpr, 0
	.set amdgpu.max_num_named_barrier, 0
	.text
	.section	.debug_abbrev,"",@progbits
	.byte	1                               ; Abbreviation Code
	.byte	17                              ; DW_TAG_compile_unit
	.byte	0                               ; DW_CHILDREN_no
	.byte	37                              ; DW_AT_producer
	.byte	14                              ; DW_FORM_strp
	.byte	19                              ; DW_AT_language
	.byte	5                               ; DW_FORM_data2
	.byte	3                               ; DW_AT_name
	.byte	14                              ; DW_FORM_strp
	.byte	16                              ; DW_AT_stmt_list
	.byte	23                              ; DW_FORM_sec_offset
	.byte	27                              ; DW_AT_comp_dir
	.byte	14                              ; DW_FORM_strp
	.byte	17                              ; DW_AT_low_pc
	.byte	1                               ; DW_FORM_addr
	.byte	18                              ; DW_AT_high_pc
	.byte	6                               ; DW_FORM_data4
	.byte	0                               ; EOM(1)
	.byte	0                               ; EOM(2)
	;; [unrolled: 1-line block ×3, first 2 shown]
	.section	.debug_info,"",@progbits
.Lcu_begin0:
	.long	.Ldebug_info_end0-.Ldebug_info_start0 ; Length of Unit
.Ldebug_info_start0:
	.short	4                               ; DWARF version number
	.long	.debug_abbrev                   ; Offset Into Abbrev. Section
	.byte	8                               ; Address Size (in bytes)
	.byte	1                               ; Abbrev [1] 0xb:0x1f DW_TAG_compile_unit
	.long	.Linfo_string0                  ; DW_AT_producer
	.short	2                               ; DW_AT_language
	.long	.Linfo_string1                  ; DW_AT_name
	.long	.Lline_table_start0             ; DW_AT_stmt_list
	.long	.Linfo_string2                  ; DW_AT_comp_dir
	.quad	.Lfunc_begin0                   ; DW_AT_low_pc
	.long	.Lfunc_end0-.Lfunc_begin0       ; DW_AT_high_pc
.Ldebug_info_end0:
	.section	.debug_str,"MS",@progbits,1
.Linfo_string0:
	.asciz	"triton"                        ; string offset=0
.Linfo_string1:
	.asciz	"histc_aot.py"                  ; string offset=7
.Linfo_string2:
	.asciz	"/root/src/amdgpu-assembly/repos/FlagOpen__FlagGems/triton_aot_kernels" ; string offset=20
	.section	".note.GNU-stack","",@progbits
	.amdgpu_metadata
---
amdhsa.kernels:
  - .agpr_count:     0
    .args:
      - .address_space:  global
        .offset:         0
        .size:           8
        .value_kind:     global_buffer
      - .address_space:  global
        .offset:         8
        .size:           8
        .value_kind:     global_buffer
      - .offset:         16
        .size:           4
        .value_kind:     by_value
      - .offset:         20
        .size:           4
        .value_kind:     by_value
      - .offset:         24
        .size:           4
        .value_kind:     by_value
      - .offset:         28
        .size:           4
        .value_kind:     by_value
      - .address_space:  global
        .offset:         32
        .size:           8
        .value_kind:     global_buffer
      - .address_space:  global
        .offset:         40
        .size:           8
        .value_kind:     global_buffer
    .group_segment_fixed_size: 0
    .kernarg_segment_align: 8
    .kernarg_segment_size: 48
    .max_flat_workgroup_size: 256
    .name:           histc_kernel_simple
    .private_segment_fixed_size: 0
    .sgpr_count:     30
    .sgpr_spill_count: 0
    .symbol:         histc_kernel_simple.kd
    .uniform_work_group_size: 1
    .uses_dynamic_stack: false
    .vgpr_count:     17
    .vgpr_spill_count: 0
    .wavefront_size: 64
amdhsa.target:   amdgcn-amd-amdhsa--gfx950
amdhsa.version:
  - 1
  - 2
...

	.end_amdgpu_metadata
	.section	.debug_line,"",@progbits
.Lline_table_start0:
